;; amdgpu-corpus repo=ROCm/rocFFT kind=compiled arch=gfx1030 opt=O3
	.text
	.amdgcn_target "amdgcn-amd-amdhsa--gfx1030"
	.amdhsa_code_object_version 6
	.protected	fft_rtc_back_len192_factors_6_4_4_2_wgs_256_tpt_32_sp_op_CI_CI_sbrc_z_xy_unaligned ; -- Begin function fft_rtc_back_len192_factors_6_4_4_2_wgs_256_tpt_32_sp_op_CI_CI_sbrc_z_xy_unaligned
	.globl	fft_rtc_back_len192_factors_6_4_4_2_wgs_256_tpt_32_sp_op_CI_CI_sbrc_z_xy_unaligned
	.p2align	8
	.type	fft_rtc_back_len192_factors_6_4_4_2_wgs_256_tpt_32_sp_op_CI_CI_sbrc_z_xy_unaligned,@function
fft_rtc_back_len192_factors_6_4_4_2_wgs_256_tpt_32_sp_op_CI_CI_sbrc_z_xy_unaligned: ; @fft_rtc_back_len192_factors_6_4_4_2_wgs_256_tpt_32_sp_op_CI_CI_sbrc_z_xy_unaligned
; %bb.0:
	s_load_dwordx8 s[8:15], s[4:5], 0x8
	v_lshl_add_u32 v3, v0, 3, 0
	s_mov_b32 s23, -1
	s_waitcnt lgkmcnt(0)
	s_load_dwordx4 s[16:19], s[10:11], 0x8
	s_waitcnt lgkmcnt(0)
	s_load_dword s19, s[12:13], 0x10
	s_add_i32 s0, s16, -1
	s_lshr_b32 s0, s0, 3
	s_add_i32 s7, s0, 1
	s_mul_i32 s1, s7, s18
	v_cvt_f32_u32_e32 v2, s7
	v_cvt_f32_u32_e32 v1, s1
	s_sub_i32 s3, 0, s1
	v_rcp_iflag_f32_e32 v2, v2
	v_rcp_iflag_f32_e32 v1, v1
	v_mul_f32_e32 v1, 0x4f7ffffe, v1
	v_cvt_u32_f32_e32 v1, v1
	v_readfirstlane_b32 s2, v1
	v_mul_f32_e32 v1, 0x4f7ffffe, v2
	s_mul_i32 s3, s3, s2
	v_cvt_u32_f32_e32 v1, v1
	s_mul_hi_u32 s3, s2, s3
	s_add_i32 s2, s2, s3
	s_mul_hi_u32 s2, s6, s2
	v_readfirstlane_b32 s18, v1
	s_mul_i32 s3, s2, s1
	s_add_i32 s10, s2, 1
	s_sub_i32 s3, s6, s3
	s_sub_i32 s11, s3, s1
	s_cmp_ge_u32 s3, s1
	s_cselect_b32 s2, s10, s2
	s_cselect_b32 s3, s11, s3
	s_add_i32 s10, s2, 1
	s_cmp_ge_u32 s3, s1
	s_cselect_b32 s17, s10, s2
	s_not_b32 s0, s0
	s_mul_i32 s1, s17, s1
	s_mul_i32 s0, s0, s18
	s_sub_i32 s10, s6, s1
	s_mul_hi_u32 s0, s18, s0
	s_add_i32 s18, s18, s0
	s_load_dwordx4 s[0:3], s[12:13], 0x0
	s_mul_hi_u32 s11, s10, s18
	s_mul_hi_u32 s18, s6, s18
	s_waitcnt lgkmcnt(0)
	s_mul_i32 s3, s11, s7
	s_mul_i32 s18, s18, s7
	s_sub_i32 s3, s10, s3
	s_add_i32 s10, s11, 1
	s_sub_i32 s20, s3, s7
	s_cmp_ge_u32 s3, s7
	s_cselect_b32 s10, s10, s11
	s_cselect_b32 s3, s20, s3
	s_add_i32 s11, s10, 1
	s_cmp_ge_u32 s3, s7
	s_cselect_b32 s3, s11, s10
	s_sub_i32 s6, s6, s18
	s_sub_i32 s10, s6, s7
	s_cmp_ge_u32 s6, s7
	s_cselect_b32 s6, s10, s6
	s_sub_i32 s10, s6, s7
	s_cmp_ge_u32 s6, s7
	s_cselect_b32 s6, s10, s6
	s_lshl_b64 s[8:9], s[8:9], 3
	s_lshl_b32 s22, s6, 3
	s_mul_i32 s6, s3, s19
	s_mul_i32 s7, s22, s2
	s_add_i32 s20, s7, s6
	s_add_u32 s6, s12, s8
	s_addc_u32 s7, s13, s9
	s_load_dwordx2 s[10:11], s[6:7], 0x0
	s_load_dwordx2 s[18:19], s[4:5], 0x58
	;; [unrolled: 1-line block ×3, first 2 shown]
	s_waitcnt lgkmcnt(0)
	s_mul_i32 s7, s11, s17
	s_mul_hi_u32 s11, s10, s17
	s_mul_i32 s10, s10, s17
	s_add_i32 s11, s11, s7
	s_add_u32 s20, s10, s20
	s_addc_u32 s21, s11, 0
	s_add_u32 s12, s14, s8
	s_addc_u32 s13, s15, s9
	s_clause 0x1
	s_load_dwordx4 s[8:11], s[14:15], 0x0
	s_load_dwordx2 s[12:13], s[12:13], 0x0
	s_add_i32 s7, s22, 8
	s_waitcnt lgkmcnt(0)
	s_mov_b32 s11, 0
	s_cmp_le_u32 s7, s16
	s_cselect_b32 s7, -1, 0
	s_and_b32 vcc_lo, exec_lo, s7
	s_cbranch_vccnz .LBB0_4
; %bb.1:
	s_lshl_b64 s[14:15], s[20:21], 3
	v_mov_b32_e32 v2, 0
	v_mov_b32_e32 v4, 0xaaab
	;; [unrolled: 1-line block ×4, first 2 shown]
	s_add_u32 s14, s18, s14
	s_addc_u32 s15, s19, s15
	s_inst_prefetch 0x1
	.p2align	6
.LBB0_2:                                ; =>This Inner Loop Header: Depth=1
	v_mul_u32_u24_sdwa v1, v5, v4 dst_sel:DWORD dst_unused:UNUSED_PAD src0_sel:WORD_0 src1_sel:DWORD
	v_lshrrev_b32_e32 v10, 23, v1
	v_mul_lo_u16 v1, 0xc0, v10
	v_sub_nc_u16 v1, v5, v1
	v_add_nc_u32_e32 v5, 0x100, v5
	v_and_b32_e32 v9, 0xffff, v1
	v_mad_u64_u32 v[7:8], null, s0, v9, 0
	v_mov_b32_e32 v1, v8
	v_mad_u64_u32 v[8:9], null, s1, v9, v[1:2]
	v_mul_lo_u32 v1, s2, v10
	v_lshlrev_b64 v[7:8], 3, v[7:8]
	v_lshlrev_b64 v[9:10], 3, v[1:2]
	v_add_co_u32 v1, vcc_lo, s14, v7
	v_add_co_ci_u32_e32 v8, vcc_lo, s15, v8, vcc_lo
	v_add_co_u32 v7, vcc_lo, v1, v9
	v_add_co_ci_u32_e32 v8, vcc_lo, v8, v10, vcc_lo
	v_cmp_lt_u32_e32 vcc_lo, 0x5ff, v5
	global_load_dwordx2 v[7:8], v[7:8], off
	s_or_b32 s11, vcc_lo, s11
	s_waitcnt vmcnt(0)
	ds_write_b64 v6, v[7:8]
	v_add_nc_u32_e32 v6, 0x800, v6
	s_andn2_b32 exec_lo, exec_lo, s11
	s_cbranch_execnz .LBB0_2
; %bb.3:
	s_inst_prefetch 0x2
	s_or_b32 exec_lo, exec_lo, s11
	s_mov_b32 s23, 0
.LBB0_4:
	s_load_dwordx2 s[14:15], s[4:5], 0x0
	s_and_b32 vcc_lo, exec_lo, s23
	s_cbranch_vccz .LBB0_6
; %bb.5:
	v_mul_u32_u24_e32 v1, 0x156, v0
	v_or_b32_e32 v4, 0x100, v0
	v_or_b32_e32 v6, 0x200, v0
	v_mov_b32_e32 v2, 0
	v_or_b32_e32 v14, 0x300, v0
	v_lshrrev_b32_e32 v10, 16, v1
	v_mul_u32_u24_e32 v1, 0x156, v4
	v_or_b32_e32 v15, 0x400, v0
	s_lshl_b64 s[20:21], s[20:21], 3
	v_mul_u32_u24_e32 v11, 0x2ab, v14
	v_mul_lo_u16 v5, 0xc0, v10
	v_lshrrev_b32_e32 v13, 16, v1
	v_mul_u32_u24_e32 v12, 0x2ab, v15
	s_add_u32 s11, s18, s20
	v_lshrrev_b32_e32 v21, 17, v11
	v_sub_nc_u16 v1, v0, v5
	v_mul_u32_u24_e32 v5, 0x2ab, v6
	v_mul_lo_u16 v7, 0xc0, v13
	v_lshrrev_b32_e32 v22, 17, v12
	v_mul_lo_u16 v23, 0xc0, v21
	v_and_b32_e32 v8, 0xffff, v1
	v_lshrrev_b32_e32 v17, 17, v5
	v_sub_nc_u16 v1, v4, v7
	v_or_b32_e32 v16, 0x500, v0
	s_addc_u32 s18, s19, s21
	v_mad_u64_u32 v[4:5], null, s0, v8, 0
	v_mul_lo_u16 v7, 0xc0, v17
	v_and_b32_e32 v18, 0xffff, v1
	v_mul_u32_u24_e32 v19, 0x2ab, v16
	v_sub_nc_u16 v9, v6, v7
	v_mov_b32_e32 v1, v5
	v_mad_u64_u32 v[6:7], null, s0, v18, 0
	v_and_b32_e32 v20, 0xffff, v9
	v_mad_u64_u32 v[8:9], null, s1, v8, v[1:2]
	v_mul_lo_u32 v1, s2, v10
	v_mad_u64_u32 v[9:10], null, s0, v20, 0
	v_mov_b32_e32 v5, v8
	v_mad_u64_u32 v[7:8], null, s1, v18, v[7:8]
	v_lshlrev_b64 v[11:12], 3, v[1:2]
	v_mov_b32_e32 v8, v10
	v_lshlrev_b64 v[4:5], 3, v[4:5]
	v_mul_lo_u32 v1, s2, v13
	v_sub_nc_u16 v10, v14, v23
	v_lshrrev_b32_e32 v23, 17, v19
	v_mad_u64_u32 v[13:14], null, s1, v20, v[8:9]
	v_add_co_u32 v8, vcc_lo, s11, v4
	v_add_co_ci_u32_e32 v14, vcc_lo, s18, v5, vcc_lo
	v_lshlrev_b64 v[4:5], 3, v[6:7]
	v_add_co_u32 v6, vcc_lo, v8, v11
	v_add_co_ci_u32_e32 v7, vcc_lo, v14, v12, vcc_lo
	v_and_b32_e32 v18, 0xffff, v10
	v_add_co_u32 v8, vcc_lo, s11, v4
	v_add_co_ci_u32_e32 v14, vcc_lo, s18, v5, vcc_lo
	v_lshlrev_b64 v[4:5], 3, v[1:2]
	v_mul_lo_u16 v1, 0xc0, v22
	v_mov_b32_e32 v10, v13
	v_mad_u64_u32 v[11:12], null, s0, v18, 0
	v_sub_nc_u16 v13, v15, v1
	v_mul_lo_u16 v1, 0xc0, v23
	v_add_co_u32 v4, vcc_lo, v8, v4
	v_add_co_ci_u32_e32 v5, vcc_lo, v14, v5, vcc_lo
	v_sub_nc_u16 v14, v16, v1
	v_and_b32_e32 v19, 0xffff, v13
	v_lshlrev_b64 v[8:9], 3, v[9:10]
	v_mov_b32_e32 v10, v12
	v_mul_lo_u32 v1, s2, v17
	v_and_b32_e32 v20, 0xffff, v14
	v_mad_u64_u32 v[13:14], null, s0, v19, 0
	v_mad_u64_u32 v[15:16], null, s1, v18, v[10:11]
	;; [unrolled: 1-line block ×3, first 2 shown]
	v_add_co_u32 v18, vcc_lo, s11, v8
	v_add_co_ci_u32_e32 v24, vcc_lo, s18, v9, vcc_lo
	v_lshlrev_b64 v[9:10], 3, v[1:2]
	v_mov_b32_e32 v8, v14
	v_mov_b32_e32 v12, v15
	v_mul_lo_u32 v1, s2, v21
	v_mad_u64_u32 v[14:15], null, s1, v19, v[8:9]
	v_mov_b32_e32 v8, v17
	v_add_co_u32 v9, vcc_lo, v18, v9
	v_lshlrev_b64 v[11:12], 3, v[11:12]
	v_add_co_ci_u32_e32 v10, vcc_lo, v24, v10, vcc_lo
	v_mad_u64_u32 v[20:21], null, s1, v20, v[8:9]
	v_lshlrev_b64 v[18:19], 3, v[1:2]
	v_mul_lo_u32 v1, s2, v22
	v_add_co_u32 v8, vcc_lo, s11, v11
	v_add_co_ci_u32_e32 v15, vcc_lo, s18, v12, vcc_lo
	v_mov_b32_e32 v17, v20
	v_lshlrev_b64 v[11:12], 3, v[13:14]
	v_add_co_u32 v13, vcc_lo, v8, v18
	v_add_co_ci_u32_e32 v14, vcc_lo, v15, v19, vcc_lo
	v_lshlrev_b64 v[18:19], 3, v[1:2]
	v_mul_lo_u32 v1, s2, v23
	v_lshlrev_b64 v[15:16], 3, v[16:17]
	v_add_co_u32 v8, vcc_lo, s11, v11
	v_add_co_ci_u32_e32 v12, vcc_lo, s18, v12, vcc_lo
	v_add_co_u32 v15, vcc_lo, s11, v15
	v_lshlrev_b64 v[1:2], 3, v[1:2]
	v_add_co_ci_u32_e32 v16, vcc_lo, s18, v16, vcc_lo
	v_add_co_u32 v11, vcc_lo, v8, v18
	v_add_co_ci_u32_e32 v12, vcc_lo, v12, v19, vcc_lo
	v_add_co_u32 v1, vcc_lo, v15, v1
	v_add_co_ci_u32_e32 v2, vcc_lo, v16, v2, vcc_lo
	s_clause 0x5
	global_load_dwordx2 v[6:7], v[6:7], off
	global_load_dwordx2 v[4:5], v[4:5], off
	;; [unrolled: 1-line block ×6, first 2 shown]
	s_waitcnt vmcnt(4)
	ds_write2st64_b64 v3, v[6:7], v[4:5] offset1:4
	s_waitcnt vmcnt(2)
	ds_write2st64_b64 v3, v[8:9], v[13:14] offset0:8 offset1:12
	s_waitcnt vmcnt(0)
	ds_write2st64_b64 v3, v[10:11], v[1:2] offset0:16 offset1:20
.LBB0_6:
	v_lshrrev_b32_e32 v1, 5, v0
	v_and_b32_e32 v23, 31, v0
	s_waitcnt lgkmcnt(0)
	s_barrier
	buffer_gl0_inv
	v_mul_u32_u24_e32 v18, 0xc0, v1
	v_lshlrev_b32_e32 v21, 3, v23
	v_cmp_gt_u32_e32 vcc_lo, 16, v23
	v_lshlrev_b32_e32 v22, 3, v18
	v_add_nc_u32_e32 v19, 0, v21
	v_add3_u32 v20, 0, v22, v21
	v_add_nc_u32_e32 v17, v19, v22
	ds_read2_b64 v[1:4], v17 offset0:32 offset1:64
	ds_read_b64 v[9:10], v20
	ds_read2_b64 v[5:8], v17 offset0:96 offset1:128
	ds_read_b64 v[11:12], v17 offset:1280
	v_mad_u32_u24 v15, v23, 40, v17
	s_waitcnt lgkmcnt(0)
	s_barrier
	buffer_gl0_inv
	v_add_f32_e32 v24, v10, v4
	v_add_f32_e32 v28, v2, v6
	v_sub_f32_e32 v27, v6, v12
	v_add_f32_e32 v6, v6, v12
	v_add_f32_e32 v14, v3, v7
	v_sub_f32_e32 v16, v4, v8
	v_add_f32_e32 v4, v4, v8
	v_add_f32_e32 v25, v1, v5
	;; [unrolled: 1-line block ×3, first 2 shown]
	v_sub_f32_e32 v5, v5, v11
	v_fma_f32 v2, -0.5, v6, v2
	v_add_f32_e32 v13, v9, v3
	v_sub_f32_e32 v3, v3, v7
	v_fma_f32 v9, -0.5, v14, v9
	v_fmac_f32_e32 v10, -0.5, v4
	v_add_f32_e32 v4, v25, v11
	v_fma_f32 v1, -0.5, v26, v1
	v_add_f32_e32 v11, v28, v12
	v_fmamk_f32 v12, v5, 0x3f5db3d7, v2
	v_fmac_f32_e32 v2, 0xbf5db3d7, v5
	v_add_f32_e32 v8, v24, v8
	v_fmamk_f32 v24, v16, 0xbf5db3d7, v9
	v_fmac_f32_e32 v9, 0x3f5db3d7, v16
	v_fmamk_f32 v16, v3, 0x3f5db3d7, v10
	v_fmac_f32_e32 v10, 0xbf5db3d7, v3
	;; [unrolled: 2-line block ×3, first 2 shown]
	v_mul_f32_e32 v25, 0xbf5db3d7, v12
	v_mul_f32_e32 v27, 0.5, v12
	v_mul_f32_e32 v26, 0xbf5db3d7, v2
	v_mul_f32_e32 v28, -0.5, v2
	v_add_f32_e32 v7, v13, v7
	v_fmac_f32_e32 v25, 0.5, v3
	v_fmac_f32_e32 v27, 0x3f5db3d7, v3
	v_fmac_f32_e32 v26, -0.5, v1
	v_fmac_f32_e32 v28, 0x3f5db3d7, v1
	v_add_f32_e32 v5, v7, v4
	v_add_f32_e32 v6, v8, v11
	v_sub_f32_e32 v8, v8, v11
	v_add_f32_e32 v11, v24, v25
	v_add_f32_e32 v12, v16, v27
	v_sub_f32_e32 v7, v7, v4
	;; [unrolled: 3-line block ×3, first 2 shown]
	v_sub_f32_e32 v3, v9, v26
	v_sub_f32_e32 v2, v16, v27
	;; [unrolled: 1-line block ×3, first 2 shown]
	ds_write2_b64 v15, v[5:6], v[11:12] offset1:1
	ds_write2_b64 v15, v[13:14], v[7:8] offset0:2 offset1:3
	ds_write2_b64 v15, v[1:2], v[3:4] offset0:4 offset1:5
	s_waitcnt lgkmcnt(0)
	s_barrier
	buffer_gl0_inv
	ds_read2_b64 v[9:12], v17 offset0:48 offset1:96
	ds_read_b64 v[13:14], v20
	ds_read_b64 v[15:16], v17 offset:1152
                                        ; implicit-def: $vgpr8
	s_and_saveexec_b32 s0, vcc_lo
	s_cbranch_execz .LBB0_8
; %bb.7:
	ds_read2_b64 v[1:4], v17 offset0:32 offset1:80
	ds_read2_b64 v[5:8], v17 offset0:128 offset1:176
.LBB0_8:
	s_or_b32 exec_lo, exec_lo, s0
	v_mul_lo_u16 v24, v23, 43
	v_lshrrev_b16 v41, 8, v24
	v_or_b32_e32 v24, 32, v23
	v_mul_lo_u16 v26, v41, 6
	v_mul_lo_u16 v25, v24, 43
	;; [unrolled: 1-line block ×3, first 2 shown]
	v_sub_nc_u16 v42, v23, v26
	v_lshrrev_b16 v27, 8, v25
	v_mov_b32_e32 v26, 3
	v_mul_lo_u16 v28, v42, 3
	v_mul_lo_u16 v29, v27, 6
	v_or_b32_e32 v41, v41, v42
	v_lshlrev_b32_sdwa v33, v26, v28 dst_sel:DWORD dst_unused:UNUSED_PAD src0_sel:DWORD src1_sel:BYTE_0
	v_sub_nc_u16 v28, v24, v29
	v_lshlrev_b32_sdwa v41, v26, v41 dst_sel:DWORD dst_unused:UNUSED_PAD src0_sel:DWORD src1_sel:BYTE_0
	s_clause 0x1
	global_load_dwordx4 v[29:32], v33, s[14:15]
	global_load_dwordx2 v[37:38], v33, s[14:15] offset:16
	v_mul_lo_u16 v34, v28, 3
	v_add3_u32 v41, 0, v41, v22
	v_lshlrev_b32_sdwa v39, v26, v34 dst_sel:DWORD dst_unused:UNUSED_PAD src0_sel:DWORD src1_sel:BYTE_0
	s_clause 0x1
	global_load_dwordx4 v[33:36], v39, s[14:15]
	global_load_dwordx2 v[39:40], v39, s[14:15] offset:16
	s_waitcnt vmcnt(0) lgkmcnt(0)
	s_barrier
	buffer_gl0_inv
	v_mul_f32_e32 v42, v30, v10
	v_mul_f32_e32 v30, v30, v9
	;; [unrolled: 1-line block ×6, first 2 shown]
	v_fmac_f32_e32 v42, v29, v9
	v_fma_f32 v9, v29, v10, -v30
	v_fmac_f32_e32 v43, v31, v11
	v_fma_f32 v10, v31, v12, -v32
	;; [unrolled: 2-line block ×3, first 2 shown]
	v_mul_f32_e32 v15, v4, v34
	v_mul_f32_e32 v12, v3, v34
	;; [unrolled: 1-line block ×6, first 2 shown]
	v_fmac_f32_e32 v15, v3, v33
	v_fma_f32 v3, v4, v33, -v12
	v_fmac_f32_e32 v16, v5, v35
	v_fma_f32 v4, v6, v35, -v29
	v_fmac_f32_e32 v30, v7, v39
	v_sub_f32_e32 v5, v13, v43
	v_sub_f32_e32 v6, v14, v10
	v_sub_f32_e32 v7, v42, v44
	v_sub_f32_e32 v10, v9, v11
	v_fma_f32 v8, v8, v39, -v31
	v_sub_f32_e32 v32, v1, v16
	v_sub_f32_e32 v4, v2, v4
	v_fma_f32 v11, v42, 2.0, -v7
	v_fma_f32 v12, v9, 2.0, -v10
	v_add_f32_e32 v9, v5, v10
	v_sub_f32_e32 v10, v6, v7
	v_sub_f32_e32 v16, v15, v30
	;; [unrolled: 1-line block ×3, first 2 shown]
	v_fma_f32 v29, v13, 2.0, -v5
	v_fma_f32 v31, v14, 2.0, -v6
	;; [unrolled: 1-line block ×7, first 2 shown]
	v_sub_f32_e32 v11, v29, v11
	v_sub_f32_e32 v12, v31, v12
	v_fma_f32 v14, v6, 2.0, -v10
	v_add_f32_e32 v7, v32, v7
	v_sub_f32_e32 v8, v4, v16
	v_sub_f32_e32 v5, v1, v5
	;; [unrolled: 1-line block ×3, first 2 shown]
	v_fma_f32 v15, v29, 2.0, -v11
	v_fma_f32 v16, v31, 2.0, -v12
	;; [unrolled: 1-line block ×6, first 2 shown]
	ds_write2_b64 v41, v[15:16], v[13:14] offset1:6
	ds_write2_b64 v41, v[11:12], v[9:10] offset0:12 offset1:18
	s_and_saveexec_b32 s0, vcc_lo
	s_cbranch_execz .LBB0_10
; %bb.9:
	v_mul_lo_u16 v9, v27, 24
	v_or_b32_e32 v9, v9, v28
	v_lshlrev_b32_sdwa v9, v26, v9 dst_sel:DWORD dst_unused:UNUSED_PAD src0_sel:DWORD src1_sel:BYTE_0
	v_add3_u32 v9, 0, v9, v22
	ds_write2_b64 v9, v[1:2], v[3:4] offset1:6
	ds_write2_b64 v9, v[5:6], v[7:8] offset0:12 offset1:18
.LBB0_10:
	s_or_b32 exec_lo, exec_lo, s0
	s_waitcnt lgkmcnt(0)
	s_barrier
	buffer_gl0_inv
	ds_read2_b64 v[9:12], v17 offset0:48 offset1:96
	ds_read_b64 v[13:14], v20
	ds_read_b64 v[15:16], v17 offset:1152
	s_and_saveexec_b32 s0, vcc_lo
	s_cbranch_execz .LBB0_12
; %bb.11:
	ds_read2_b64 v[1:4], v17 offset0:32 offset1:80
	ds_read2_b64 v[5:8], v17 offset0:128 offset1:176
.LBB0_12:
	s_or_b32 exec_lo, exec_lo, s0
	v_subrev_nc_u32_e32 v26, 24, v23
	v_cmp_gt_u32_e64 s0, 24, v23
	v_mov_b32_e32 v27, 0
	v_cndmask_b32_e64 v32, v26, v23, s0
	v_mul_i32_i24_e32 v26, 3, v32
	v_lshlrev_b64 v[26:27], 3, v[26:27]
	v_add_co_u32 v30, s0, s14, v26
	v_add_co_ci_u32_e64 v31, s0, s15, v27, s0
	v_cmp_lt_u32_e64 s0, 23, v23
	s_clause 0x1
	global_load_dwordx4 v[26:29], v[30:31], off offset:144
	global_load_dwordx2 v[30:31], v[30:31], off offset:160
	s_waitcnt vmcnt(0) lgkmcnt(0)
	s_barrier
	buffer_gl0_inv
	v_mul_f32_e32 v33, v27, v10
	v_mul_f32_e32 v27, v27, v9
	v_mul_f32_e32 v34, v29, v12
	v_mul_f32_e32 v29, v29, v11
	v_mul_f32_e32 v35, v31, v16
	v_mul_f32_e32 v31, v31, v15
	v_fmac_f32_e32 v33, v26, v9
	v_fma_f32 v9, v26, v10, -v27
	v_fmac_f32_e32 v34, v28, v11
	v_fma_f32 v10, v28, v12, -v29
	;; [unrolled: 2-line block ×3, first 2 shown]
	v_cndmask_b32_e64 v12, 0, 0x60, s0
	v_sub_f32_e32 v15, v13, v34
	v_sub_f32_e32 v16, v14, v10
	;; [unrolled: 1-line block ×4, first 2 shown]
	v_or_b32_e32 v12, v12, v32
	v_fma_f32 v23, v13, 2.0, -v15
	v_fma_f32 v26, v14, 2.0, -v16
	;; [unrolled: 1-line block ×4, first 2 shown]
	v_lshlrev_b32_e32 v27, 3, v12
	v_add_f32_e32 v9, v15, v11
	v_sub_f32_e32 v10, v16, v10
	v_sub_f32_e32 v11, v23, v13
	;; [unrolled: 1-line block ×3, first 2 shown]
	v_add3_u32 v27, 0, v27, v22
	v_fma_f32 v13, v15, 2.0, -v9
	v_fma_f32 v14, v16, 2.0, -v10
	;; [unrolled: 1-line block ×4, first 2 shown]
	ds_write2_b64 v27, v[15:16], v[13:14] offset1:24
	ds_write2_b64 v27, v[11:12], v[9:10] offset0:48 offset1:72
	s_and_saveexec_b32 s0, vcc_lo
	s_cbranch_execz .LBB0_14
; %bb.13:
	v_lshrrev_b16 v9, 10, v25
	v_mov_b32_e32 v15, 3
	v_mul_lo_u16 v9, v9, 24
	v_sub_nc_u16 v16, v24, v9
	v_mul_u32_u24_sdwa v9, v16, v15 dst_sel:DWORD dst_unused:UNUSED_PAD src0_sel:BYTE_0 src1_sel:DWORD
	v_lshlrev_b32_e32 v13, 3, v9
	s_clause 0x1
	global_load_dwordx4 v[9:12], v13, s[14:15] offset:144
	global_load_dwordx2 v[13:14], v13, s[14:15] offset:160
	s_waitcnt vmcnt(1)
	v_mul_f32_e32 v23, v5, v12
	v_mul_f32_e32 v24, v4, v10
	s_waitcnt vmcnt(0)
	v_mul_f32_e32 v25, v8, v14
	v_mul_f32_e32 v10, v3, v10
	;; [unrolled: 1-line block ×4, first 2 shown]
	v_fma_f32 v6, v6, v11, -v23
	v_fmac_f32_e32 v24, v3, v9
	v_fma_f32 v3, v4, v9, -v10
	v_fma_f32 v4, v8, v13, -v14
	v_fmac_f32_e32 v12, v5, v11
	v_fmac_f32_e32 v25, v7, v13
	v_sub_f32_e32 v5, v2, v6
	v_lshlrev_b32_sdwa v11, v15, v16 dst_sel:DWORD dst_unused:UNUSED_PAD src0_sel:DWORD src1_sel:BYTE_0
	v_sub_f32_e32 v4, v3, v4
	v_sub_f32_e32 v7, v1, v12
	v_sub_f32_e32 v6, v24, v25
	v_fma_f32 v8, v2, 2.0, -v5
	v_fma_f32 v3, v3, 2.0, -v4
	;; [unrolled: 1-line block ×4, first 2 shown]
	v_sub_f32_e32 v2, v5, v6
	v_add_f32_e32 v1, v7, v4
	v_sub_f32_e32 v4, v8, v3
	v_sub_f32_e32 v3, v9, v10
	v_add3_u32 v10, 0, v11, v22
	v_fma_f32 v6, v5, 2.0, -v2
	v_fma_f32 v5, v7, 2.0, -v1
	;; [unrolled: 1-line block ×4, first 2 shown]
	ds_write2_b64 v10, v[7:8], v[5:6] offset0:96 offset1:120
	ds_write2_b64 v10, v[3:4], v[1:2] offset0:144 offset1:168
.LBB0_14:
	s_or_b32 exec_lo, exec_lo, s0
	s_waitcnt lgkmcnt(0)
	s_barrier
	buffer_gl0_inv
	s_clause 0x2
	global_load_dwordx2 v[10:11], v21, s[14:15] offset:720
	global_load_dwordx2 v[12:13], v21, s[14:15] offset:976
	global_load_dwordx2 v[14:15], v21, s[14:15] offset:1232
	ds_read2_b64 v[2:5], v17 offset0:96 offset1:128
	ds_read_b64 v[21:22], v17 offset:1280
	v_and_b32_e32 v1, 7, v0
	ds_read_b64 v[23:24], v20
	ds_read2_b64 v[6:9], v17 offset0:32 offset1:64
	v_lshl_add_u32 v18, v18, 3, v19
	s_waitcnt vmcnt(0) lgkmcnt(0)
	s_barrier
	v_or_b32_e32 v16, s22, v1
	buffer_gl0_inv
	v_cmp_gt_u32_e32 vcc_lo, s16, v16
	s_or_b32 s0, s7, vcc_lo
	v_mul_f32_e32 v16, v11, v3
	v_mul_f32_e32 v11, v11, v2
	;; [unrolled: 1-line block ×6, first 2 shown]
	v_fmac_f32_e32 v16, v10, v2
	v_fma_f32 v3, v10, v3, -v11
	v_fmac_f32_e32 v19, v12, v4
	v_fma_f32 v5, v12, v5, -v13
	;; [unrolled: 2-line block ×3, first 2 shown]
	v_sub_f32_e32 v2, v23, v16
	v_sub_f32_e32 v3, v24, v3
	;; [unrolled: 1-line block ×6, first 2 shown]
	v_fma_f32 v12, v23, 2.0, -v2
	v_fma_f32 v13, v24, 2.0, -v3
	;; [unrolled: 1-line block ×6, first 2 shown]
	ds_write2_b64 v18, v[4:5], v[10:11] offset0:128 offset1:160
	ds_write2_b64 v17, v[12:13], v[6:7] offset1:32
	ds_write2_b64 v17, v[8:9], v[2:3] offset0:64 offset1:96
	s_waitcnt lgkmcnt(0)
	s_barrier
	buffer_gl0_inv
	s_and_saveexec_b32 s1, s0
	s_cbranch_execz .LBB0_16
; %bb.15:
	v_mad_u64_u32 v[4:5], null, s8, v1, 0
	s_load_dwordx2 s[0:1], s[4:5], 0x60
	s_mul_i32 s5, s9, s22
	s_mul_hi_u32 s7, s8, s22
	s_mul_i32 s4, s8, s22
	s_add_i32 s5, s7, s5
	s_mul_i32 s2, s3, s10
	v_mov_b32_e32 v2, v5
	v_lshrrev_b32_e32 v5, 3, v0
	v_and_b32_e32 v0, 0xf8, v0
	s_mul_i32 s10, s13, s17
	s_mul_hi_u32 s11, s12, s17
	v_mad_u64_u32 v[2:3], null, s9, v1, v[2:3]
	v_mul_u32_u24_e32 v1, 0x600, v1
	v_mul_lo_u32 v12, v5, s6
	s_lshl_b64 s[4:5], s[4:5], 3
	s_mov_b32 s3, 0
	s_add_i32 s9, s11, s10
	v_add3_u32 v8, 0, v1, v0
	v_mov_b32_e32 v5, v2
	s_waitcnt lgkmcnt(0)
	s_add_u32 s4, s0, s4
	s_addc_u32 s5, s1, s5
	s_lshl_b64 s[0:1], s[2:3], 3
	ds_read2_b64 v[0:3], v8 offset1:32
	s_mul_i32 s8, s12, s17
	v_mov_b32_e32 v13, 0
	v_lshlrev_b64 v[4:5], 3, v[4:5]
	s_add_u32 s2, s4, s0
	s_addc_u32 s3, s5, s1
	s_lshl_b64 s[0:1], s[8:9], 3
	v_lshlrev_b64 v[6:7], 3, v[12:13]
	s_add_u32 s0, s2, s0
	s_addc_u32 s1, s3, s1
	s_lshl_b32 s2, s6, 5
	v_add_co_u32 v20, vcc_lo, s0, v4
	v_add_co_ci_u32_e32 v21, vcc_lo, s1, v5, vcc_lo
	v_add_nc_u32_e32 v12, s2, v12
	v_add_co_u32 v4, vcc_lo, v20, v6
	v_add_co_ci_u32_e32 v5, vcc_lo, v21, v7, vcc_lo
	v_lshlrev_b64 v[6:7], 3, v[12:13]
	v_add_nc_u32_e32 v12, s2, v12
	s_waitcnt lgkmcnt(0)
	global_store_dwordx2 v[4:5], v[0:1], off
	v_lshlrev_b64 v[0:1], 3, v[12:13]
	v_add_nc_u32_e32 v12, s2, v12
	v_add_co_u32 v14, vcc_lo, v20, v6
	v_add_co_ci_u32_e32 v15, vcc_lo, v21, v7, vcc_lo
	ds_read2_b64 v[4:7], v8 offset0:64 offset1:96
	v_lshlrev_b64 v[16:17], 3, v[12:13]
	v_add_nc_u32_e32 v12, s2, v12
	ds_read2_b64 v[8:11], v8 offset0:128 offset1:160
	v_add_co_u32 v0, vcc_lo, v20, v0
	v_add_co_ci_u32_e32 v1, vcc_lo, v21, v1, vcc_lo
	v_lshlrev_b64 v[18:19], 3, v[12:13]
	v_add_nc_u32_e32 v12, s2, v12
	v_add_co_u32 v16, vcc_lo, v20, v16
	v_add_co_ci_u32_e32 v17, vcc_lo, v21, v17, vcc_lo
	v_lshlrev_b64 v[12:13], 3, v[12:13]
	v_add_co_u32 v18, vcc_lo, v20, v18
	v_add_co_ci_u32_e32 v19, vcc_lo, v21, v19, vcc_lo
	v_add_co_u32 v12, vcc_lo, v20, v12
	v_add_co_ci_u32_e32 v13, vcc_lo, v21, v13, vcc_lo
	global_store_dwordx2 v[14:15], v[2:3], off
	s_waitcnt lgkmcnt(1)
	global_store_dwordx2 v[0:1], v[4:5], off
	global_store_dwordx2 v[16:17], v[6:7], off
	s_waitcnt lgkmcnt(0)
	global_store_dwordx2 v[18:19], v[8:9], off
	global_store_dwordx2 v[12:13], v[10:11], off
.LBB0_16:
	s_endpgm
	.section	.rodata,"a",@progbits
	.p2align	6, 0x0
	.amdhsa_kernel fft_rtc_back_len192_factors_6_4_4_2_wgs_256_tpt_32_sp_op_CI_CI_sbrc_z_xy_unaligned
		.amdhsa_group_segment_fixed_size 0
		.amdhsa_private_segment_fixed_size 0
		.amdhsa_kernarg_size 104
		.amdhsa_user_sgpr_count 6
		.amdhsa_user_sgpr_private_segment_buffer 1
		.amdhsa_user_sgpr_dispatch_ptr 0
		.amdhsa_user_sgpr_queue_ptr 0
		.amdhsa_user_sgpr_kernarg_segment_ptr 1
		.amdhsa_user_sgpr_dispatch_id 0
		.amdhsa_user_sgpr_flat_scratch_init 0
		.amdhsa_user_sgpr_private_segment_size 0
		.amdhsa_wavefront_size32 1
		.amdhsa_uses_dynamic_stack 0
		.amdhsa_system_sgpr_private_segment_wavefront_offset 0
		.amdhsa_system_sgpr_workgroup_id_x 1
		.amdhsa_system_sgpr_workgroup_id_y 0
		.amdhsa_system_sgpr_workgroup_id_z 0
		.amdhsa_system_sgpr_workgroup_info 0
		.amdhsa_system_vgpr_workitem_id 0
		.amdhsa_next_free_vgpr 45
		.amdhsa_next_free_sgpr 24
		.amdhsa_reserve_vcc 1
		.amdhsa_reserve_flat_scratch 0
		.amdhsa_float_round_mode_32 0
		.amdhsa_float_round_mode_16_64 0
		.amdhsa_float_denorm_mode_32 3
		.amdhsa_float_denorm_mode_16_64 3
		.amdhsa_dx10_clamp 1
		.amdhsa_ieee_mode 1
		.amdhsa_fp16_overflow 0
		.amdhsa_workgroup_processor_mode 1
		.amdhsa_memory_ordered 1
		.amdhsa_forward_progress 0
		.amdhsa_shared_vgpr_count 0
		.amdhsa_exception_fp_ieee_invalid_op 0
		.amdhsa_exception_fp_denorm_src 0
		.amdhsa_exception_fp_ieee_div_zero 0
		.amdhsa_exception_fp_ieee_overflow 0
		.amdhsa_exception_fp_ieee_underflow 0
		.amdhsa_exception_fp_ieee_inexact 0
		.amdhsa_exception_int_div_zero 0
	.end_amdhsa_kernel
	.text
.Lfunc_end0:
	.size	fft_rtc_back_len192_factors_6_4_4_2_wgs_256_tpt_32_sp_op_CI_CI_sbrc_z_xy_unaligned, .Lfunc_end0-fft_rtc_back_len192_factors_6_4_4_2_wgs_256_tpt_32_sp_op_CI_CI_sbrc_z_xy_unaligned
                                        ; -- End function
	.section	.AMDGPU.csdata,"",@progbits
; Kernel info:
; codeLenInByte = 3816
; NumSgprs: 26
; NumVgprs: 45
; ScratchSize: 0
; MemoryBound: 0
; FloatMode: 240
; IeeeMode: 1
; LDSByteSize: 0 bytes/workgroup (compile time only)
; SGPRBlocks: 3
; VGPRBlocks: 5
; NumSGPRsForWavesPerEU: 26
; NumVGPRsForWavesPerEU: 45
; Occupancy: 16
; WaveLimiterHint : 1
; COMPUTE_PGM_RSRC2:SCRATCH_EN: 0
; COMPUTE_PGM_RSRC2:USER_SGPR: 6
; COMPUTE_PGM_RSRC2:TRAP_HANDLER: 0
; COMPUTE_PGM_RSRC2:TGID_X_EN: 1
; COMPUTE_PGM_RSRC2:TGID_Y_EN: 0
; COMPUTE_PGM_RSRC2:TGID_Z_EN: 0
; COMPUTE_PGM_RSRC2:TIDIG_COMP_CNT: 0
	.text
	.p2alignl 6, 3214868480
	.fill 48, 4, 3214868480
	.type	__hip_cuid_75727db9241716c1,@object ; @__hip_cuid_75727db9241716c1
	.section	.bss,"aw",@nobits
	.globl	__hip_cuid_75727db9241716c1
__hip_cuid_75727db9241716c1:
	.byte	0                               ; 0x0
	.size	__hip_cuid_75727db9241716c1, 1

	.ident	"AMD clang version 19.0.0git (https://github.com/RadeonOpenCompute/llvm-project roc-6.4.0 25133 c7fe45cf4b819c5991fe208aaa96edf142730f1d)"
	.section	".note.GNU-stack","",@progbits
	.addrsig
	.addrsig_sym __hip_cuid_75727db9241716c1
	.amdgpu_metadata
---
amdhsa.kernels:
  - .args:
      - .actual_access:  read_only
        .address_space:  global
        .offset:         0
        .size:           8
        .value_kind:     global_buffer
      - .offset:         8
        .size:           8
        .value_kind:     by_value
      - .actual_access:  read_only
        .address_space:  global
        .offset:         16
        .size:           8
        .value_kind:     global_buffer
      - .actual_access:  read_only
        .address_space:  global
        .offset:         24
        .size:           8
        .value_kind:     global_buffer
      - .actual_access:  read_only
        .address_space:  global
        .offset:         32
        .size:           8
        .value_kind:     global_buffer
      - .offset:         40
        .size:           8
        .value_kind:     by_value
      - .actual_access:  read_only
        .address_space:  global
        .offset:         48
        .size:           8
        .value_kind:     global_buffer
      - .actual_access:  read_only
        .address_space:  global
        .offset:         56
        .size:           8
        .value_kind:     global_buffer
      - .offset:         64
        .size:           4
        .value_kind:     by_value
      - .actual_access:  read_only
        .address_space:  global
        .offset:         72
        .size:           8
        .value_kind:     global_buffer
      - .actual_access:  read_only
        .address_space:  global
        .offset:         80
        .size:           8
        .value_kind:     global_buffer
      - .actual_access:  read_only
        .address_space:  global
        .offset:         88
        .size:           8
        .value_kind:     global_buffer
      - .actual_access:  write_only
        .address_space:  global
        .offset:         96
        .size:           8
        .value_kind:     global_buffer
    .group_segment_fixed_size: 0
    .kernarg_segment_align: 8
    .kernarg_segment_size: 104
    .language:       OpenCL C
    .language_version:
      - 2
      - 0
    .max_flat_workgroup_size: 256
    .name:           fft_rtc_back_len192_factors_6_4_4_2_wgs_256_tpt_32_sp_op_CI_CI_sbrc_z_xy_unaligned
    .private_segment_fixed_size: 0
    .sgpr_count:     26
    .sgpr_spill_count: 0
    .symbol:         fft_rtc_back_len192_factors_6_4_4_2_wgs_256_tpt_32_sp_op_CI_CI_sbrc_z_xy_unaligned.kd
    .uniform_work_group_size: 1
    .uses_dynamic_stack: false
    .vgpr_count:     45
    .vgpr_spill_count: 0
    .wavefront_size: 32
    .workgroup_processor_mode: 1
amdhsa.target:   amdgcn-amd-amdhsa--gfx1030
amdhsa.version:
  - 1
  - 2
...

	.end_amdgpu_metadata
